;; amdgpu-corpus repo=ROCm/rocFFT kind=compiled arch=gfx906 opt=O3
	.text
	.amdgcn_target "amdgcn-amd-amdhsa--gfx906"
	.amdhsa_code_object_version 6
	.protected	fft_rtc_back_len700_factors_10_7_10_wgs_100_tpt_100_dp_op_CI_CI_unitstride_sbrr_C2R_dirReg ; -- Begin function fft_rtc_back_len700_factors_10_7_10_wgs_100_tpt_100_dp_op_CI_CI_unitstride_sbrr_C2R_dirReg
	.globl	fft_rtc_back_len700_factors_10_7_10_wgs_100_tpt_100_dp_op_CI_CI_unitstride_sbrr_C2R_dirReg
	.p2align	8
	.type	fft_rtc_back_len700_factors_10_7_10_wgs_100_tpt_100_dp_op_CI_CI_unitstride_sbrr_C2R_dirReg,@function
fft_rtc_back_len700_factors_10_7_10_wgs_100_tpt_100_dp_op_CI_CI_unitstride_sbrr_C2R_dirReg: ; @fft_rtc_back_len700_factors_10_7_10_wgs_100_tpt_100_dp_op_CI_CI_unitstride_sbrr_C2R_dirReg
; %bb.0:
	s_load_dwordx4 s[8:11], s[4:5], 0x58
	s_load_dwordx4 s[12:15], s[4:5], 0x0
	;; [unrolled: 1-line block ×3, first 2 shown]
	v_mul_u32_u24_e32 v1, 0x290, v0
	v_add_u32_sdwa v5, s6, v1 dst_sel:DWORD dst_unused:UNUSED_PAD src0_sel:DWORD src1_sel:WORD_1
	v_mov_b32_e32 v3, 0
	s_waitcnt lgkmcnt(0)
	v_cmp_lt_u64_e64 s[0:1], s[14:15], 2
	v_mov_b32_e32 v1, 0
	v_mov_b32_e32 v6, v3
	s_and_b64 vcc, exec, s[0:1]
	v_mov_b32_e32 v2, 0
	s_cbranch_vccnz .LBB0_8
; %bb.1:
	s_load_dwordx2 s[0:1], s[4:5], 0x10
	s_add_u32 s2, s18, 8
	s_addc_u32 s3, s19, 0
	s_add_u32 s6, s16, 8
	v_mov_b32_e32 v1, 0
	s_addc_u32 s7, s17, 0
	v_mov_b32_e32 v2, 0
	s_waitcnt lgkmcnt(0)
	s_add_u32 s20, s0, 8
	v_mov_b32_e32 v53, v2
	s_addc_u32 s21, s1, 0
	s_mov_b64 s[22:23], 1
	v_mov_b32_e32 v52, v1
.LBB0_2:                                ; =>This Inner Loop Header: Depth=1
	s_load_dwordx2 s[24:25], s[20:21], 0x0
                                        ; implicit-def: $vgpr54_vgpr55
	s_waitcnt lgkmcnt(0)
	v_or_b32_e32 v4, s25, v6
	v_cmp_ne_u64_e32 vcc, 0, v[3:4]
	s_and_saveexec_b64 s[0:1], vcc
	s_xor_b64 s[26:27], exec, s[0:1]
	s_cbranch_execz .LBB0_4
; %bb.3:                                ;   in Loop: Header=BB0_2 Depth=1
	v_cvt_f32_u32_e32 v4, s24
	v_cvt_f32_u32_e32 v7, s25
	s_sub_u32 s0, 0, s24
	s_subb_u32 s1, 0, s25
	v_mac_f32_e32 v4, 0x4f800000, v7
	v_rcp_f32_e32 v4, v4
	v_mul_f32_e32 v4, 0x5f7ffffc, v4
	v_mul_f32_e32 v7, 0x2f800000, v4
	v_trunc_f32_e32 v7, v7
	v_mac_f32_e32 v4, 0xcf800000, v7
	v_cvt_u32_f32_e32 v7, v7
	v_cvt_u32_f32_e32 v4, v4
	v_mul_lo_u32 v8, s0, v7
	v_mul_hi_u32 v9, s0, v4
	v_mul_lo_u32 v11, s1, v4
	v_mul_lo_u32 v10, s0, v4
	v_add_u32_e32 v8, v9, v8
	v_add_u32_e32 v8, v8, v11
	v_mul_hi_u32 v9, v4, v10
	v_mul_lo_u32 v11, v4, v8
	v_mul_hi_u32 v13, v4, v8
	v_mul_hi_u32 v12, v7, v10
	v_mul_lo_u32 v10, v7, v10
	v_mul_hi_u32 v14, v7, v8
	v_add_co_u32_e32 v9, vcc, v9, v11
	v_addc_co_u32_e32 v11, vcc, 0, v13, vcc
	v_mul_lo_u32 v8, v7, v8
	v_add_co_u32_e32 v9, vcc, v9, v10
	v_addc_co_u32_e32 v9, vcc, v11, v12, vcc
	v_addc_co_u32_e32 v10, vcc, 0, v14, vcc
	v_add_co_u32_e32 v8, vcc, v9, v8
	v_addc_co_u32_e32 v9, vcc, 0, v10, vcc
	v_add_co_u32_e32 v4, vcc, v4, v8
	v_addc_co_u32_e32 v7, vcc, v7, v9, vcc
	v_mul_lo_u32 v8, s0, v7
	v_mul_hi_u32 v9, s0, v4
	v_mul_lo_u32 v10, s1, v4
	v_mul_lo_u32 v11, s0, v4
	v_add_u32_e32 v8, v9, v8
	v_add_u32_e32 v8, v8, v10
	v_mul_lo_u32 v12, v4, v8
	v_mul_hi_u32 v13, v4, v11
	v_mul_hi_u32 v14, v4, v8
	v_mul_hi_u32 v10, v7, v11
	v_mul_lo_u32 v11, v7, v11
	v_mul_hi_u32 v9, v7, v8
	v_add_co_u32_e32 v12, vcc, v13, v12
	v_addc_co_u32_e32 v13, vcc, 0, v14, vcc
	v_mul_lo_u32 v8, v7, v8
	v_add_co_u32_e32 v11, vcc, v12, v11
	v_addc_co_u32_e32 v10, vcc, v13, v10, vcc
	v_addc_co_u32_e32 v9, vcc, 0, v9, vcc
	v_add_co_u32_e32 v8, vcc, v10, v8
	v_addc_co_u32_e32 v9, vcc, 0, v9, vcc
	v_add_co_u32_e32 v4, vcc, v4, v8
	v_addc_co_u32_e32 v9, vcc, v7, v9, vcc
	v_mad_u64_u32 v[7:8], s[0:1], v5, v9, 0
	v_mul_hi_u32 v10, v5, v4
	v_add_co_u32_e32 v11, vcc, v10, v7
	v_addc_co_u32_e32 v12, vcc, 0, v8, vcc
	v_mad_u64_u32 v[7:8], s[0:1], v6, v4, 0
	v_mad_u64_u32 v[9:10], s[0:1], v6, v9, 0
	v_add_co_u32_e32 v4, vcc, v11, v7
	v_addc_co_u32_e32 v4, vcc, v12, v8, vcc
	v_addc_co_u32_e32 v7, vcc, 0, v10, vcc
	v_add_co_u32_e32 v4, vcc, v4, v9
	v_addc_co_u32_e32 v9, vcc, 0, v7, vcc
	v_mul_lo_u32 v10, s25, v4
	v_mul_lo_u32 v11, s24, v9
	v_mad_u64_u32 v[7:8], s[0:1], s24, v4, 0
	v_add3_u32 v8, v8, v11, v10
	v_sub_u32_e32 v10, v6, v8
	v_mov_b32_e32 v11, s25
	v_sub_co_u32_e32 v7, vcc, v5, v7
	v_subb_co_u32_e64 v10, s[0:1], v10, v11, vcc
	v_subrev_co_u32_e64 v11, s[0:1], s24, v7
	v_subbrev_co_u32_e64 v10, s[0:1], 0, v10, s[0:1]
	v_cmp_le_u32_e64 s[0:1], s25, v10
	v_cndmask_b32_e64 v12, 0, -1, s[0:1]
	v_cmp_le_u32_e64 s[0:1], s24, v11
	v_cndmask_b32_e64 v11, 0, -1, s[0:1]
	v_cmp_eq_u32_e64 s[0:1], s25, v10
	v_cndmask_b32_e64 v10, v12, v11, s[0:1]
	v_add_co_u32_e64 v11, s[0:1], 2, v4
	v_addc_co_u32_e64 v12, s[0:1], 0, v9, s[0:1]
	v_add_co_u32_e64 v13, s[0:1], 1, v4
	v_addc_co_u32_e64 v14, s[0:1], 0, v9, s[0:1]
	v_subb_co_u32_e32 v8, vcc, v6, v8, vcc
	v_cmp_ne_u32_e64 s[0:1], 0, v10
	v_cmp_le_u32_e32 vcc, s25, v8
	v_cndmask_b32_e64 v10, v14, v12, s[0:1]
	v_cndmask_b32_e64 v12, 0, -1, vcc
	v_cmp_le_u32_e32 vcc, s24, v7
	v_cndmask_b32_e64 v7, 0, -1, vcc
	v_cmp_eq_u32_e32 vcc, s25, v8
	v_cndmask_b32_e32 v7, v12, v7, vcc
	v_cmp_ne_u32_e32 vcc, 0, v7
	v_cndmask_b32_e64 v7, v13, v11, s[0:1]
	v_cndmask_b32_e32 v55, v9, v10, vcc
	v_cndmask_b32_e32 v54, v4, v7, vcc
.LBB0_4:                                ;   in Loop: Header=BB0_2 Depth=1
	s_andn2_saveexec_b64 s[0:1], s[26:27]
	s_cbranch_execz .LBB0_6
; %bb.5:                                ;   in Loop: Header=BB0_2 Depth=1
	v_cvt_f32_u32_e32 v4, s24
	s_sub_i32 s26, 0, s24
	v_mov_b32_e32 v55, v3
	v_rcp_iflag_f32_e32 v4, v4
	v_mul_f32_e32 v4, 0x4f7ffffe, v4
	v_cvt_u32_f32_e32 v4, v4
	v_mul_lo_u32 v7, s26, v4
	v_mul_hi_u32 v7, v4, v7
	v_add_u32_e32 v4, v4, v7
	v_mul_hi_u32 v4, v5, v4
	v_mul_lo_u32 v7, v4, s24
	v_add_u32_e32 v8, 1, v4
	v_sub_u32_e32 v7, v5, v7
	v_subrev_u32_e32 v9, s24, v7
	v_cmp_le_u32_e32 vcc, s24, v7
	v_cndmask_b32_e32 v7, v7, v9, vcc
	v_cndmask_b32_e32 v4, v4, v8, vcc
	v_add_u32_e32 v8, 1, v4
	v_cmp_le_u32_e32 vcc, s24, v7
	v_cndmask_b32_e32 v54, v4, v8, vcc
.LBB0_6:                                ;   in Loop: Header=BB0_2 Depth=1
	s_or_b64 exec, exec, s[0:1]
	v_mul_lo_u32 v4, v55, s24
	v_mul_lo_u32 v9, v54, s25
	v_mad_u64_u32 v[7:8], s[0:1], v54, s24, 0
	s_load_dwordx2 s[0:1], s[6:7], 0x0
	s_load_dwordx2 s[24:25], s[2:3], 0x0
	v_add3_u32 v4, v8, v9, v4
	v_sub_co_u32_e32 v5, vcc, v5, v7
	v_subb_co_u32_e32 v4, vcc, v6, v4, vcc
	s_waitcnt lgkmcnt(0)
	v_mul_lo_u32 v6, s0, v4
	v_mul_lo_u32 v7, s1, v5
	v_mad_u64_u32 v[1:2], s[0:1], s0, v5, v[1:2]
	v_mul_lo_u32 v4, s24, v4
	v_mul_lo_u32 v8, s25, v5
	v_mad_u64_u32 v[52:53], s[0:1], s24, v5, v[52:53]
	s_add_u32 s22, s22, 1
	s_addc_u32 s23, s23, 0
	s_add_u32 s2, s2, 8
	v_add3_u32 v53, v8, v53, v4
	s_addc_u32 s3, s3, 0
	v_mov_b32_e32 v4, s14
	s_add_u32 s6, s6, 8
	v_mov_b32_e32 v5, s15
	s_addc_u32 s7, s7, 0
	v_cmp_ge_u64_e32 vcc, s[22:23], v[4:5]
	s_add_u32 s20, s20, 8
	v_add3_u32 v2, v7, v2, v6
	s_addc_u32 s21, s21, 0
	s_cbranch_vccnz .LBB0_9
; %bb.7:                                ;   in Loop: Header=BB0_2 Depth=1
	v_mov_b32_e32 v5, v54
	v_mov_b32_e32 v6, v55
	s_branch .LBB0_2
.LBB0_8:
	v_mov_b32_e32 v53, v2
	v_mov_b32_e32 v55, v6
	;; [unrolled: 1-line block ×4, first 2 shown]
.LBB0_9:
	s_load_dwordx2 s[4:5], s[4:5], 0x28
	s_lshl_b64 s[6:7], s[14:15], 3
	s_add_u32 s2, s18, s6
	s_addc_u32 s3, s19, s7
                                        ; implicit-def: $vgpr56
	s_waitcnt lgkmcnt(0)
	v_cmp_gt_u64_e64 s[0:1], s[4:5], v[54:55]
	v_cmp_le_u64_e32 vcc, s[4:5], v[54:55]
	s_and_saveexec_b64 s[4:5], vcc
	s_xor_b64 s[4:5], exec, s[4:5]
; %bb.10:
	s_mov_b32 s14, 0x28f5c29
	v_mul_hi_u32 v1, v0, s14
	v_mul_u32_u24_e32 v1, 0x64, v1
	v_sub_u32_e32 v56, v0, v1
                                        ; implicit-def: $vgpr0
                                        ; implicit-def: $vgpr1_vgpr2
; %bb.11:
	s_or_saveexec_b64 s[4:5], s[4:5]
	s_load_dwordx2 s[2:3], s[2:3], 0x0
	s_xor_b64 exec, exec, s[4:5]
	s_cbranch_execz .LBB0_15
; %bb.12:
	s_add_u32 s6, s16, s6
	s_addc_u32 s7, s17, s7
	s_load_dwordx2 s[6:7], s[6:7], 0x0
	s_mov_b32 s14, 0x28f5c29
	v_mul_hi_u32 v5, v0, s14
	v_lshlrev_b64 v[1:2], 4, v[1:2]
	s_waitcnt lgkmcnt(0)
	v_mul_lo_u32 v6, s7, v54
	v_mul_lo_u32 v7, s6, v55
	v_mad_u64_u32 v[3:4], s[6:7], s6, v54, 0
	v_mul_u32_u24_e32 v5, 0x64, v5
	v_sub_u32_e32 v56, v0, v5
	v_add3_u32 v4, v4, v7, v6
	v_lshlrev_b64 v[3:4], 4, v[3:4]
	v_mov_b32_e32 v0, s9
	v_add_co_u32_e32 v3, vcc, s8, v3
	v_addc_co_u32_e32 v0, vcc, v0, v4, vcc
	v_add_co_u32_e32 v1, vcc, v3, v1
	v_addc_co_u32_e32 v0, vcc, v0, v2, vcc
	v_lshlrev_b32_e32 v32, 4, v56
	v_add_co_u32_e32 v26, vcc, v1, v32
	v_addc_co_u32_e32 v27, vcc, 0, v0, vcc
	s_movk_i32 s6, 0x1000
	v_add_co_u32_e32 v28, vcc, s6, v26
	global_load_dwordx4 v[2:5], v[26:27], off
	global_load_dwordx4 v[6:9], v[26:27], off offset:1600
	v_addc_co_u32_e32 v29, vcc, 0, v27, vcc
	global_load_dwordx4 v[10:13], v[26:27], off offset:3200
	global_load_dwordx4 v[14:17], v[28:29], off offset:704
	;; [unrolled: 1-line block ×4, first 2 shown]
	v_add_co_u32_e32 v30, vcc, 0x2000, v26
	v_addc_co_u32_e32 v31, vcc, 0, v27, vcc
	global_load_dwordx4 v[26:29], v[30:31], off offset:1408
	s_movk_i32 s6, 0x63
	v_add_u32_e32 v30, 0, v32
	v_cmp_eq_u32_e32 vcc, s6, v56
	s_waitcnt vmcnt(6)
	ds_write_b128 v30, v[2:5]
	s_waitcnt vmcnt(5)
	ds_write_b128 v30, v[6:9] offset:1600
	s_waitcnt vmcnt(4)
	ds_write_b128 v30, v[10:13] offset:3200
	;; [unrolled: 2-line block ×6, first 2 shown]
	s_and_saveexec_b64 s[6:7], vcc
	s_cbranch_execz .LBB0_14
; %bb.13:
	v_add_co_u32_e32 v1, vcc, 0x2000, v1
	v_addc_co_u32_e32 v2, vcc, 0, v0, vcc
	global_load_dwordx4 v[0:3], v[1:2], off offset:3008
	v_mov_b32_e32 v4, 0
	v_mov_b32_e32 v56, 0x63
	s_waitcnt vmcnt(0)
	ds_write_b128 v4, v[0:3] offset:11200
.LBB0_14:
	s_or_b64 exec, exec, s[6:7]
.LBB0_15:
	s_or_b64 exec, exec, s[4:5]
	v_lshlrev_b32_e32 v0, 4, v56
	v_add_u32_e32 v113, 0, v0
	s_waitcnt lgkmcnt(0)
	s_barrier
	v_sub_u32_e32 v10, 0, v0
	ds_read_b64 v[6:7], v113
	ds_read_b64 v[8:9], v10 offset:11200
	s_add_u32 s6, s12, 0x2b20
	s_addc_u32 s7, s13, 0
	v_cmp_ne_u32_e32 vcc, 0, v56
                                        ; implicit-def: $vgpr4_vgpr5
	s_waitcnt lgkmcnt(0)
	v_add_f64 v[0:1], v[6:7], v[8:9]
	v_add_f64 v[2:3], v[6:7], -v[8:9]
	s_and_saveexec_b64 s[4:5], vcc
	s_xor_b64 s[4:5], exec, s[4:5]
	s_cbranch_execz .LBB0_17
; %bb.16:
	v_mov_b32_e32 v57, 0
	v_lshlrev_b64 v[0:1], 4, v[56:57]
	v_mov_b32_e32 v2, s7
	v_add_co_u32_e32 v0, vcc, s6, v0
	v_addc_co_u32_e32 v1, vcc, v2, v1, vcc
	global_load_dwordx4 v[2:5], v[0:1], off
	ds_read_b64 v[0:1], v10 offset:11208
	ds_read_b64 v[11:12], v113 offset:8
	v_add_f64 v[13:14], v[6:7], v[8:9]
	v_add_f64 v[8:9], v[6:7], -v[8:9]
	s_waitcnt lgkmcnt(0)
	v_add_f64 v[15:16], v[0:1], v[11:12]
	v_add_f64 v[0:1], v[11:12], -v[0:1]
	s_waitcnt vmcnt(0)
	v_fma_f64 v[6:7], -v[8:9], v[4:5], v[13:14]
	v_fma_f64 v[11:12], v[15:16], v[4:5], -v[0:1]
	v_fma_f64 v[13:14], v[8:9], v[4:5], v[13:14]
	v_fma_f64 v[17:18], v[15:16], v[4:5], v[0:1]
	;; [unrolled: 1-line block ×4, first 2 shown]
	v_fma_f64 v[0:1], -v[15:16], v[2:3], v[13:14]
	v_fma_f64 v[2:3], v[8:9], v[2:3], v[17:18]
	ds_write_b128 v10, v[4:7] offset:11200
	v_mov_b32_e32 v4, v56
	v_mov_b32_e32 v5, v57
.LBB0_17:
	s_andn2_saveexec_b64 s[4:5], s[4:5]
	s_cbranch_execz .LBB0_19
; %bb.18:
	v_mov_b32_e32 v8, 0
	ds_read_b128 v[4:7], v8 offset:5600
	s_waitcnt lgkmcnt(0)
	v_add_f64 v[11:12], v[4:5], v[4:5]
	v_mul_f64 v[13:14], v[6:7], -2.0
	v_mov_b32_e32 v4, 0
	v_mov_b32_e32 v5, 0
	ds_write_b128 v8, v[11:14] offset:5600
.LBB0_19:
	s_or_b64 exec, exec, s[4:5]
	v_lshlrev_b64 v[4:5], 4, v[4:5]
	v_mov_b32_e32 v6, s7
	v_add_co_u32_e32 v4, vcc, s6, v4
	v_addc_co_u32_e32 v5, vcc, v6, v5, vcc
	global_load_dwordx4 v[6:9], v[4:5], off offset:1600
	global_load_dwordx4 v[11:14], v[4:5], off offset:3200
	ds_write_b128 v113, v[0:3]
	ds_read_b128 v[0:3], v113 offset:1600
	ds_read_b128 v[15:18], v10 offset:9600
	v_cmp_gt_u32_e32 vcc, 50, v56
	s_waitcnt lgkmcnt(0)
	v_add_f64 v[19:20], v[0:1], v[15:16]
	v_add_f64 v[21:22], v[17:18], v[2:3]
	v_add_f64 v[23:24], v[0:1], -v[15:16]
	v_add_f64 v[0:1], v[2:3], -v[17:18]
	s_waitcnt vmcnt(1)
	v_fma_f64 v[2:3], v[23:24], v[8:9], v[19:20]
	v_fma_f64 v[15:16], v[21:22], v[8:9], v[0:1]
	v_fma_f64 v[17:18], -v[23:24], v[8:9], v[19:20]
	v_fma_f64 v[8:9], v[21:22], v[8:9], -v[0:1]
	v_fma_f64 v[0:1], -v[21:22], v[6:7], v[2:3]
	v_fma_f64 v[2:3], v[23:24], v[6:7], v[15:16]
	v_fma_f64 v[15:16], v[21:22], v[6:7], v[17:18]
	;; [unrolled: 1-line block ×3, first 2 shown]
	ds_write_b128 v113, v[0:3] offset:1600
	ds_write_b128 v10, v[15:18] offset:9600
	ds_read_b128 v[0:3], v113 offset:3200
	ds_read_b128 v[6:9], v10 offset:8000
	s_waitcnt lgkmcnt(0)
	v_add_f64 v[15:16], v[0:1], v[6:7]
	v_add_f64 v[17:18], v[8:9], v[2:3]
	v_add_f64 v[19:20], v[0:1], -v[6:7]
	v_add_f64 v[0:1], v[2:3], -v[8:9]
	s_waitcnt vmcnt(0)
	v_fma_f64 v[2:3], v[19:20], v[13:14], v[15:16]
	v_fma_f64 v[6:7], v[17:18], v[13:14], v[0:1]
	v_fma_f64 v[8:9], -v[19:20], v[13:14], v[15:16]
	v_fma_f64 v[13:14], v[17:18], v[13:14], -v[0:1]
	v_fma_f64 v[0:1], -v[17:18], v[11:12], v[2:3]
	v_fma_f64 v[2:3], v[19:20], v[11:12], v[6:7]
	v_fma_f64 v[6:7], v[17:18], v[11:12], v[8:9]
	;; [unrolled: 1-line block ×3, first 2 shown]
	ds_write_b128 v113, v[0:3] offset:3200
	ds_write_b128 v10, v[6:9] offset:8000
	s_and_saveexec_b64 s[4:5], vcc
	s_cbranch_execz .LBB0_21
; %bb.20:
	s_movk_i32 s6, 0x1000
	v_add_co_u32_e32 v0, vcc, s6, v4
	v_addc_co_u32_e32 v1, vcc, 0, v5, vcc
	global_load_dwordx4 v[0:3], v[0:1], off offset:704
	ds_read_b128 v[4:7], v113 offset:4800
	ds_read_b128 v[11:14], v10 offset:6400
	s_waitcnt lgkmcnt(0)
	v_add_f64 v[8:9], v[4:5], v[11:12]
	v_add_f64 v[15:16], v[13:14], v[6:7]
	v_add_f64 v[11:12], v[4:5], -v[11:12]
	v_add_f64 v[4:5], v[6:7], -v[13:14]
	s_waitcnt vmcnt(0)
	v_fma_f64 v[6:7], v[11:12], v[2:3], v[8:9]
	v_fma_f64 v[13:14], v[15:16], v[2:3], v[4:5]
	v_fma_f64 v[8:9], -v[11:12], v[2:3], v[8:9]
	v_fma_f64 v[17:18], v[15:16], v[2:3], -v[4:5]
	v_fma_f64 v[2:3], -v[15:16], v[0:1], v[6:7]
	v_fma_f64 v[4:5], v[11:12], v[0:1], v[13:14]
	v_fma_f64 v[6:7], v[15:16], v[0:1], v[8:9]
	;; [unrolled: 1-line block ×3, first 2 shown]
	ds_write_b128 v113, v[2:5] offset:4800
	ds_write_b128 v10, v[6:9] offset:6400
.LBB0_21:
	s_or_b64 exec, exec, s[4:5]
	s_waitcnt lgkmcnt(0)
	s_barrier
	s_barrier
	ds_read_b128 v[12:15], v113 offset:4480
	ds_read_b128 v[16:19], v113 offset:2240
	;; [unrolled: 1-line block ×6, first 2 shown]
	s_waitcnt lgkmcnt(4)
	v_add_f64 v[0:1], v[16:17], -v[12:13]
	ds_read_b128 v[32:35], v113 offset:7840
	ds_read_b128 v[28:31], v113 offset:10080
	s_waitcnt lgkmcnt(4)
	v_add_f64 v[2:3], v[24:25], -v[20:21]
	v_add_f64 v[4:5], v[16:17], v[24:25]
	ds_read_b128 v[44:47], v113
	ds_read_b128 v[48:51], v113 offset:1120
	v_add_f64 v[6:7], v[12:13], -v[16:17]
	v_add_f64 v[8:9], v[20:21], -v[24:25]
	;; [unrolled: 1-line block ×3, first 2 shown]
	s_mov_b32 s6, 0x134454ff
	s_mov_b32 s7, 0x3fee6f0e
	v_add_f64 v[67:68], v[0:1], v[2:3]
	s_waitcnt lgkmcnt(1)
	v_fma_f64 v[4:5], v[4:5], -0.5, v[44:45]
	v_add_f64 v[2:3], v[18:19], v[26:27]
	s_mov_b32 s17, 0xbfee6f0e
	s_mov_b32 s16, s6
	v_add_f64 v[0:1], v[6:7], v[8:9]
	v_add_f64 v[71:72], v[18:19], -v[26:27]
	v_add_f64 v[69:70], v[12:13], -v[20:21]
	s_mov_b32 s4, 0x4755a5e
	v_fma_f64 v[6:7], v[65:66], s[6:7], v[4:5]
	v_fma_f64 v[2:3], v[2:3], -0.5, v[46:47]
	v_fma_f64 v[4:5], v[65:66], s[16:17], v[4:5]
	s_mov_b32 s5, 0x3fe2cf23
	s_mov_b32 s15, 0xbfe2cf23
	;; [unrolled: 1-line block ×3, first 2 shown]
	v_add_f64 v[8:9], v[14:15], -v[18:19]
	v_add_f64 v[10:11], v[22:23], -v[26:27]
	v_fma_f64 v[6:7], v[71:72], s[14:15], v[6:7]
	v_fma_f64 v[57:58], v[69:70], s[16:17], v[2:3]
	v_add_f64 v[73:74], v[16:17], -v[24:25]
	v_fma_f64 v[2:3], v[69:70], s[6:7], v[2:3]
	v_fma_f64 v[4:5], v[71:72], s[4:5], v[4:5]
	s_mov_b32 s8, 0x372fe950
	s_mov_b32 s9, 0x3fd3c6ef
	v_add_f64 v[61:62], v[18:19], -v[14:15]
	v_add_f64 v[63:64], v[26:27], -v[22:23]
	v_add_f64 v[8:9], v[8:9], v[10:11]
	v_add_f64 v[10:11], v[40:41], v[28:29]
	v_fma_f64 v[75:76], v[73:74], s[4:5], v[57:58]
	v_fma_f64 v[2:3], v[73:74], s[14:15], v[2:3]
	v_add_f64 v[83:84], v[42:43], v[30:31]
	v_fma_f64 v[57:58], v[0:1], s[8:9], v[6:7]
	v_fma_f64 v[59:60], v[0:1], s[8:9], v[4:5]
	v_add_f64 v[4:5], v[36:37], -v[40:41]
	v_add_f64 v[6:7], v[32:33], -v[28:29]
	;; [unrolled: 1-line block ×4, first 2 shown]
	s_waitcnt lgkmcnt(0)
	v_fma_f64 v[0:1], v[10:11], -0.5, v[48:49]
	v_add_f64 v[87:88], v[38:39], -v[34:35]
	v_add_f64 v[79:80], v[61:62], v[63:64]
	v_fma_f64 v[10:11], v[83:84], -0.5, v[50:51]
	v_add_f64 v[85:86], v[36:37], -v[32:33]
	v_fma_f64 v[61:62], v[8:9], s[8:9], v[75:76]
	v_fma_f64 v[63:64], v[8:9], s[8:9], v[2:3]
	v_add_f64 v[4:5], v[4:5], v[6:7]
	v_add_f64 v[6:7], v[38:39], -v[42:43]
	v_add_f64 v[8:9], v[34:35], -v[30:31]
	v_add_f64 v[83:84], v[38:39], v[34:35]
	v_fma_f64 v[2:3], v[87:88], s[6:7], v[0:1]
	v_add_f64 v[91:92], v[42:43], -v[30:31]
	v_fma_f64 v[75:76], v[85:86], s[16:17], v[10:11]
	v_add_f64 v[107:108], v[40:41], -v[28:29]
	v_fma_f64 v[0:1], v[87:88], s[16:17], v[0:1]
	v_add_f64 v[103:104], v[77:78], v[81:82]
	v_add_f64 v[77:78], v[36:37], v[32:33]
	;; [unrolled: 1-line block ×3, first 2 shown]
	v_fma_f64 v[8:9], v[85:86], s[6:7], v[10:11]
	v_fma_f64 v[105:106], v[83:84], -0.5, v[50:51]
	v_fma_f64 v[2:3], v[91:92], s[14:15], v[2:3]
	v_fma_f64 v[10:11], v[107:108], s[4:5], v[75:76]
	;; [unrolled: 1-line block ×3, first 2 shown]
	v_add_f64 v[75:76], v[42:43], -v[38:39]
	v_fma_f64 v[109:110], v[77:78], -0.5, v[48:49]
	v_add_f64 v[77:78], v[30:31], -v[34:35]
	v_fma_f64 v[8:9], v[107:108], s[14:15], v[8:9]
	v_fma_f64 v[81:82], v[107:108], s[16:17], v[105:106]
	v_add_f64 v[83:84], v[12:13], v[20:21]
	v_add_f64 v[89:90], v[14:15], v[22:23]
	v_fma_f64 v[2:3], v[4:5], s[8:9], v[2:3]
	v_fma_f64 v[10:11], v[6:7], s[8:9], v[10:11]
	;; [unrolled: 1-line block ×4, first 2 shown]
	v_add_f64 v[111:112], v[75:76], v[77:78]
	v_fma_f64 v[6:7], v[6:7], s[8:9], v[8:9]
	v_fma_f64 v[8:9], v[85:86], s[14:15], v[81:82]
	v_fma_f64 v[95:96], v[83:84], -0.5, v[44:45]
	v_fma_f64 v[101:102], v[89:90], -0.5, v[46:47]
	v_mul_f64 v[75:76], v[10:11], s[16:17]
	s_mov_b32 s19, 0xbfd3c6ef
	v_fma_f64 v[4:5], v[87:88], s[4:5], v[4:5]
	s_mov_b32 s18, s8
	v_mul_f64 v[77:78], v[6:7], s[16:17]
	v_fma_f64 v[8:9], v[111:112], s[8:9], v[8:9]
	v_fma_f64 v[81:82], v[71:72], s[6:7], v[95:96]
	;; [unrolled: 1-line block ×3, first 2 shown]
	s_mov_b32 s17, 0xbfe9e377
	s_mov_b32 s16, 0x9b97f4a8
	v_mul_f64 v[10:11], v[10:11], s[8:9]
	v_mul_f64 v[6:7], v[6:7], s[18:19]
	v_fma_f64 v[4:5], v[103:104], s[8:9], v[4:5]
	v_mul_f64 v[97:98], v[8:9], s[14:15]
	v_mul_f64 v[8:9], v[8:9], s[16:17]
	v_fma_f64 v[99:100], v[65:66], s[4:5], v[81:82]
	v_fma_f64 v[114:115], v[69:70], s[14:15], v[83:84]
	;; [unrolled: 1-line block ×10, first 2 shown]
	v_add_f64 v[0:1], v[57:58], -v[75:76]
	v_add_f64 v[2:3], v[61:62], -v[89:90]
	;; [unrolled: 1-line block ×4, first 2 shown]
	s_movk_i32 s14, 0x46
	v_cmp_gt_u32_e32 vcc, s14, v56
	v_add_f64 v[8:9], v[83:84], -v[81:82]
	v_add_f64 v[10:11], v[99:100], -v[97:98]
	s_barrier
	s_and_saveexec_b64 s[14:15], vcc
	s_cbranch_execz .LBB0_23
; %bb.22:
	v_mul_f64 v[91:92], v[91:92], s[6:7]
	v_mul_f64 v[107:108], v[107:108], s[6:7]
	;; [unrolled: 1-line block ×5, first 2 shown]
	v_add_f64 v[18:19], v[46:47], v[18:19]
	v_add_f64 v[42:43], v[50:51], v[42:43]
	;; [unrolled: 1-line block ×3, first 2 shown]
	v_add_f64 v[91:92], v[109:110], -v[91:92]
	v_add_f64 v[105:106], v[105:106], v[107:108]
	v_add_f64 v[40:41], v[48:49], v[40:41]
	v_mul_f64 v[71:72], v[71:72], s[6:7]
	v_mul_f64 v[103:104], v[103:104], s[8:9]
	;; [unrolled: 1-line block ×4, first 2 shown]
	v_add_f64 v[44:45], v[101:102], v[73:74]
	v_add_f64 v[46:47], v[91:92], -v[87:88]
	v_add_f64 v[50:51], v[85:86], v[105:106]
	v_add_f64 v[14:15], v[18:19], v[14:15]
	;; [unrolled: 1-line block ×5, first 2 shown]
	v_mul_f64 v[65:66], v[65:66], s[4:5]
	v_add_f64 v[42:43], v[95:96], -v[71:72]
	v_add_f64 v[38:39], v[103:104], v[46:47]
	v_add_f64 v[46:47], v[107:108], v[50:51]
	v_mul_f64 v[79:80], v[79:80], s[8:9]
	v_add_f64 v[36:37], v[69:70], v[44:45]
	v_add_f64 v[14:15], v[14:15], v[22:23]
	;; [unrolled: 1-line block ×5, first 2 shown]
	v_mul_f64 v[67:68], v[67:68], s[8:9]
	v_mul_f64 v[22:23], v[38:39], s[4:5]
	v_add_f64 v[34:35], v[42:43], -v[65:66]
	v_mul_f64 v[40:41], v[46:47], s[4:5]
	s_mov_b32 s17, 0x3fe9e377
	v_add_f64 v[32:33], v[79:80], v[36:37]
	v_add_f64 v[36:37], v[14:15], v[26:27]
	;; [unrolled: 1-line block ×5, first 2 shown]
	v_fma_f64 v[44:45], v[46:47], s[16:17], v[22:23]
	v_add_f64 v[46:47], v[67:68], v[34:35]
	v_fma_f64 v[40:41], v[38:39], s[16:17], -v[40:41]
	v_add_f64 v[30:31], v[61:62], v[89:90]
	v_add_f64 v[28:29], v[57:58], v[75:76]
	v_add_f64 v[18:19], v[36:37], -v[42:43]
	v_add_f64 v[38:39], v[36:37], v[42:43]
	v_add_f64 v[36:37], v[48:49], v[16:17]
	v_add_f64 v[22:23], v[32:33], -v[44:45]
	v_add_f64 v[34:35], v[32:33], v[44:45]
	v_add_f64 v[32:33], v[46:47], v[40:41]
	;; [unrolled: 1-line block ×6, first 2 shown]
	v_add_f64 v[16:17], v[48:49], -v[16:17]
	v_add_f64 v[20:21], v[46:47], -v[40:41]
	s_movk_i32 s4, 0x90
	v_mad_u32_u24 v40, v56, s4, v113
	ds_write_b128 v40, v[36:39]
	ds_write_b128 v40, v[32:35] offset:16
	ds_write_b128 v40, v[28:31] offset:32
	ds_write_b128 v40, v[24:27] offset:48
	ds_write_b128 v40, v[12:15] offset:64
	ds_write_b128 v40, v[16:19] offset:80
	ds_write_b128 v40, v[20:23] offset:96
	ds_write_b128 v40, v[0:3] offset:112
	ds_write_b128 v40, v[4:7] offset:128
	ds_write_b128 v40, v[8:11] offset:144
.LBB0_23:
	s_or_b64 exec, exec, s[14:15]
	s_movk_i32 s4, 0xcd
	v_mul_lo_u16_sdwa v12, v56, s4 dst_sel:DWORD dst_unused:UNUSED_PAD src0_sel:BYTE_0 src1_sel:DWORD
	v_lshrrev_b16_e32 v69, 11, v12
	v_mul_lo_u16_e32 v12, 10, v69
	v_sub_u16_e32 v70, v56, v12
	v_mov_b32_e32 v12, 6
	v_mul_u32_u24_sdwa v12, v70, v12 dst_sel:DWORD dst_unused:UNUSED_PAD src0_sel:BYTE_0 src1_sel:DWORD
	v_lshlrev_b32_e32 v36, 4, v12
	s_waitcnt lgkmcnt(0)
	s_barrier
	global_load_dwordx4 v[12:15], v36, s[12:13]
	global_load_dwordx4 v[16:19], v36, s[12:13] offset:16
	global_load_dwordx4 v[20:23], v36, s[12:13] offset:32
	;; [unrolled: 1-line block ×5, first 2 shown]
	ds_read_b128 v[36:39], v113
	ds_read_b128 v[40:43], v113 offset:1600
	ds_read_b128 v[44:47], v113 offset:3200
	;; [unrolled: 1-line block ×6, first 2 shown]
	v_mov_b32_e32 v71, 4
	v_mul_u32_u24_e32 v69, 0x460, v69
	v_lshlrev_b32_sdwa v70, v71, v70 dst_sel:DWORD dst_unused:UNUSED_PAD src0_sel:DWORD src1_sel:BYTE_0
	v_add3_u32 v81, 0, v69, v70
	s_mov_b32 s6, 0x37e14327
	s_mov_b32 s4, 0x36b3c0b5
	;; [unrolled: 1-line block ×16, first 2 shown]
	s_waitcnt vmcnt(0) lgkmcnt(0)
	s_barrier
	v_mul_f64 v[69:70], v[42:43], v[14:15]
	v_mul_f64 v[14:15], v[40:41], v[14:15]
	v_mul_f64 v[71:72], v[46:47], v[18:19]
	v_mul_f64 v[18:19], v[44:45], v[18:19]
	v_mul_f64 v[73:74], v[50:51], v[22:23]
	v_mul_f64 v[22:23], v[48:49], v[22:23]
	v_mul_f64 v[77:78], v[67:68], v[30:31]
	v_mul_f64 v[30:31], v[65:66], v[30:31]
	v_mul_f64 v[79:80], v[63:64], v[34:35]
	v_mul_f64 v[34:35], v[61:62], v[34:35]
	v_mul_f64 v[75:76], v[59:60], v[26:27]
	v_mul_f64 v[26:27], v[57:58], v[26:27]
	v_fma_f64 v[40:41], v[40:41], v[12:13], v[69:70]
	v_fma_f64 v[12:13], v[42:43], v[12:13], -v[14:15]
	v_fma_f64 v[14:15], v[44:45], v[16:17], v[71:72]
	v_fma_f64 v[16:17], v[46:47], v[16:17], -v[18:19]
	;; [unrolled: 2-line block ×6, first 2 shown]
	v_add_f64 v[26:27], v[40:41], v[18:19]
	v_add_f64 v[42:43], v[12:13], v[28:29]
	v_add_f64 v[18:19], v[40:41], -v[18:19]
	v_add_f64 v[12:13], v[12:13], -v[28:29]
	v_add_f64 v[28:29], v[14:15], v[22:23]
	v_add_f64 v[40:41], v[16:17], v[32:33]
	v_add_f64 v[14:15], v[14:15], -v[22:23]
	v_add_f64 v[16:17], v[16:17], -v[32:33]
	;; [unrolled: 4-line block ×4, first 2 shown]
	v_add_f64 v[28:29], v[22:23], -v[28:29]
	v_add_f64 v[42:43], v[42:43], -v[32:33]
	;; [unrolled: 1-line block ×3, first 2 shown]
	v_add_f64 v[48:49], v[30:31], v[14:15]
	v_add_f64 v[50:51], v[20:21], v[16:17]
	v_add_f64 v[57:58], v[30:31], -v[14:15]
	v_add_f64 v[59:60], v[20:21], -v[16:17]
	;; [unrolled: 1-line block ×5, first 2 shown]
	v_add_f64 v[22:23], v[22:23], v[24:25]
	v_add_f64 v[24:25], v[32:33], v[34:35]
	v_add_f64 v[30:31], v[18:19], -v[30:31]
	v_add_f64 v[20:21], v[12:13], -v[20:21]
	v_add_f64 v[18:19], v[48:49], v[18:19]
	v_add_f64 v[32:33], v[50:51], v[12:13]
	v_mul_f64 v[34:35], v[42:43], s[6:7]
	v_mul_f64 v[42:43], v[28:29], s[4:5]
	;; [unrolled: 1-line block ×8, first 2 shown]
	v_add_f64 v[12:13], v[36:37], v[22:23]
	v_add_f64 v[14:15], v[38:39], v[24:25]
	v_fma_f64 v[36:37], v[40:41], s[4:5], v[34:35]
	v_fma_f64 v[38:39], v[44:45], s[18:19], -v[42:43]
	v_fma_f64 v[40:41], v[46:47], s[18:19], -v[48:49]
	s_mov_b32 s19, 0xbfe77f67
	v_fma_f64 v[42:43], v[30:31], s[20:21], v[50:51]
	v_fma_f64 v[48:49], v[20:21], s[20:21], v[57:58]
	s_mov_b32 s21, 0x3fd5d0dc
	v_fma_f64 v[28:29], v[28:29], s[4:5], v[26:27]
	v_fma_f64 v[50:51], v[61:62], s[8:9], -v[50:51]
	v_fma_f64 v[16:17], v[16:17], s[8:9], -v[57:58]
	;; [unrolled: 1-line block ×6, first 2 shown]
	v_fma_f64 v[22:23], v[22:23], s[14:15], v[12:13]
	v_fma_f64 v[24:25], v[24:25], s[14:15], v[14:15]
	;; [unrolled: 1-line block ×8, first 2 shown]
	v_add_f64 v[57:58], v[28:29], v[22:23]
	v_add_f64 v[59:60], v[36:37], v[24:25]
	;; [unrolled: 1-line block ×7, first 2 shown]
	v_add_f64 v[18:19], v[59:60], -v[42:43]
	v_add_f64 v[20:21], v[32:33], v[36:37]
	v_add_f64 v[22:23], v[34:35], -v[50:51]
	v_add_f64 v[24:25], v[28:29], -v[48:49]
	v_add_f64 v[26:27], v[46:47], v[30:31]
	v_add_f64 v[28:29], v[48:49], v[28:29]
	v_add_f64 v[30:31], v[30:31], -v[46:47]
	v_add_f64 v[32:33], v[36:37], -v[32:33]
	v_add_f64 v[34:35], v[50:51], v[34:35]
	v_add_f64 v[36:37], v[57:58], -v[44:45]
	v_add_f64 v[38:39], v[42:43], v[59:60]
	ds_write_b128 v81, v[12:15]
	ds_write_b128 v81, v[16:19] offset:160
	ds_write_b128 v81, v[20:23] offset:320
	;; [unrolled: 1-line block ×6, first 2 shown]
	s_waitcnt lgkmcnt(0)
	s_barrier
	s_and_saveexec_b64 s[4:5], vcc
	s_cbranch_execz .LBB0_25
; %bb.24:
	ds_read_b128 v[12:15], v113
	ds_read_b128 v[16:19], v113 offset:1120
	ds_read_b128 v[20:23], v113 offset:2240
	;; [unrolled: 1-line block ×9, first 2 shown]
.LBB0_25:
	s_or_b64 exec, exec, s[4:5]
	s_waitcnt lgkmcnt(0)
	s_barrier
	s_and_saveexec_b64 s[4:5], vcc
	s_cbranch_execz .LBB0_27
; %bb.26:
	v_add_u32_e32 v40, 0xffffffba, v56
	v_cndmask_b32_e32 v40, v40, v56, vcc
	v_mul_i32_i24_e32 v40, 9, v40
	v_mov_b32_e32 v41, 0
	v_lshlrev_b64 v[40:41], 4, v[40:41]
	v_mov_b32_e32 v42, s13
	v_add_co_u32_e32 v81, vcc, s12, v40
	v_addc_co_u32_e32 v82, vcc, v42, v41, vcc
	global_load_dwordx4 v[40:43], v[81:82], off offset:976
	global_load_dwordx4 v[44:47], v[81:82], off offset:1008
	global_load_dwordx4 v[48:51], v[81:82], off offset:1072
	global_load_dwordx4 v[57:60], v[81:82], off offset:1040
	global_load_dwordx4 v[61:64], v[81:82], off offset:992
	global_load_dwordx4 v[65:68], v[81:82], off offset:1024
	global_load_dwordx4 v[69:72], v[81:82], off offset:1088
	global_load_dwordx4 v[73:76], v[81:82], off offset:1056
	global_load_dwordx4 v[77:80], v[81:82], off offset:960
	s_mov_b32 s6, 0x134454ff
	s_mov_b32 s7, 0xbfee6f0e
	;; [unrolled: 1-line block ×16, first 2 shown]
	s_waitcnt vmcnt(8)
	v_mul_f64 v[81:82], v[20:21], v[42:43]
	s_waitcnt vmcnt(7)
	v_mul_f64 v[83:84], v[28:29], v[46:47]
	s_waitcnt vmcnt(6)
	v_mul_f64 v[85:86], v[4:5], v[50:51]
	s_waitcnt vmcnt(5)
	v_mul_f64 v[87:88], v[36:37], v[59:60]
	s_waitcnt vmcnt(4)
	v_mul_f64 v[89:90], v[26:27], v[63:64]
	s_waitcnt vmcnt(3)
	v_mul_f64 v[91:92], v[34:35], v[67:68]
	s_waitcnt vmcnt(2)
	v_mul_f64 v[93:94], v[10:11], v[71:72]
	s_waitcnt vmcnt(1)
	v_mul_f64 v[95:96], v[2:3], v[75:76]
	v_mul_f64 v[67:68], v[32:33], v[67:68]
	v_mul_f64 v[75:76], v[0:1], v[75:76]
	;; [unrolled: 1-line block ×6, first 2 shown]
	s_waitcnt vmcnt(0)
	v_mul_f64 v[97:98], v[18:19], v[79:80]
	v_mul_f64 v[63:64], v[24:25], v[63:64]
	;; [unrolled: 1-line block ×4, first 2 shown]
	v_fma_f64 v[22:23], v[22:23], v[40:41], -v[81:82]
	v_fma_f64 v[30:31], v[30:31], v[44:45], -v[83:84]
	;; [unrolled: 1-line block ×4, first 2 shown]
	v_fma_f64 v[24:25], v[24:25], v[61:62], v[89:90]
	v_fma_f64 v[32:33], v[32:33], v[65:66], v[91:92]
	v_fma_f64 v[8:9], v[8:9], v[69:70], v[93:94]
	v_fma_f64 v[0:1], v[0:1], v[73:74], v[95:96]
	v_fma_f64 v[6:7], v[34:35], v[65:66], -v[67:68]
	v_fma_f64 v[2:3], v[2:3], v[73:74], -v[75:76]
	v_fma_f64 v[20:21], v[20:21], v[40:41], v[42:43]
	v_fma_f64 v[40:41], v[4:5], v[48:49], v[50:51]
	;; [unrolled: 1-line block ×5, first 2 shown]
	v_fma_f64 v[26:27], v[26:27], v[61:62], -v[63:64]
	v_fma_f64 v[10:11], v[10:11], v[69:70], -v[71:72]
	;; [unrolled: 1-line block ×3, first 2 shown]
	v_add_f64 v[34:35], v[22:23], -v[30:31]
	v_add_f64 v[36:37], v[81:82], -v[38:39]
	v_add_f64 v[42:43], v[30:31], v[38:39]
	v_add_f64 v[48:49], v[24:25], -v[32:33]
	v_add_f64 v[50:51], v[8:9], -v[0:1]
	v_add_f64 v[59:60], v[32:33], v[0:1]
	v_add_f64 v[67:68], v[6:7], v[2:3]
	;; [unrolled: 1-line block ×3, first 2 shown]
	v_add_f64 v[46:47], v[4:5], -v[28:29]
	v_add_f64 v[61:62], v[26:27], -v[10:11]
	;; [unrolled: 1-line block ×7, first 2 shown]
	v_add_f64 v[85:86], v[24:25], v[8:9]
	v_add_f64 v[91:92], v[26:27], v[10:11]
	;; [unrolled: 1-line block ×4, first 2 shown]
	v_fma_f64 v[36:37], v[42:43], -0.5, v[14:15]
	v_add_f64 v[42:43], v[48:49], v[50:51]
	v_fma_f64 v[48:49], v[59:60], -0.5, v[16:17]
	v_fma_f64 v[59:60], v[67:68], -0.5, v[18:19]
	;; [unrolled: 1-line block ×3, first 2 shown]
	v_add_f64 v[44:45], v[20:21], -v[40:41]
	v_add_f64 v[57:58], v[6:7], -v[2:3]
	;; [unrolled: 1-line block ×7, first 2 shown]
	v_add_f64 v[26:27], v[18:19], v[26:27]
	v_add_f64 v[50:51], v[63:64], v[65:66]
	;; [unrolled: 1-line block ×3, first 2 shown]
	v_fma_f64 v[67:68], v[85:86], -0.5, v[16:17]
	v_fma_f64 v[18:19], v[91:92], -0.5, v[18:19]
	v_fma_f64 v[77:78], v[61:62], s[14:15], v[48:49]
	v_fma_f64 v[79:80], v[69:70], s[6:7], v[59:60]
	;; [unrolled: 1-line block ×5, first 2 shown]
	v_add_f64 v[95:96], v[4:5], v[28:29]
	v_add_f64 v[97:98], v[20:21], v[40:41]
	v_add_f64 v[63:64], v[73:74], v[75:76]
	v_add_f64 v[73:74], v[87:88], v[89:90]
	v_add_f64 v[75:76], v[93:94], v[30:31]
	v_fma_f64 v[85:86], v[57:58], s[6:7], v[67:68]
	v_fma_f64 v[87:88], v[71:72], s[14:15], v[18:19]
	;; [unrolled: 1-line block ×10, first 2 shown]
	v_add_f64 v[6:7], v[26:27], v[6:7]
	v_fma_f64 v[26:27], v[44:45], s[6:7], v[36:37]
	v_fma_f64 v[36:37], v[44:45], s[14:15], v[36:37]
	v_fma_f64 v[87:88], v[69:70], s[12:13], v[87:88]
	v_add_f64 v[75:76], v[75:76], v[38:39]
	v_fma_f64 v[85:86], v[61:62], s[16:17], v[85:86]
	v_fma_f64 v[18:19], v[69:70], s[16:17], v[18:19]
	;; [unrolled: 1-line block ×8, first 2 shown]
	v_fma_f64 v[63:64], v[95:96], -0.5, v[12:13]
	v_add_f64 v[30:31], v[30:31], -v[38:39]
	v_fma_f64 v[38:39], v[97:98], -0.5, v[12:13]
	v_add_f64 v[12:13], v[12:13], v[20:21]
	v_add_f64 v[16:17], v[16:17], v[24:25]
	v_fma_f64 v[59:60], v[71:72], s[16:17], v[59:60]
	v_add_f64 v[22:23], v[22:23], -v[81:82]
	v_fma_f64 v[67:68], v[65:66], s[8:9], v[85:86]
	v_fma_f64 v[71:72], v[73:74], s[8:9], v[18:19]
	v_mul_f64 v[18:19], v[69:70], s[18:19]
	v_add_f64 v[77:78], v[20:21], -v[4:5]
	v_add_f64 v[85:86], v[4:5], -v[20:21]
	v_add_f64 v[4:5], v[12:13], v[4:5]
	v_add_f64 v[12:13], v[16:17], v[32:33]
	v_fma_f64 v[50:51], v[50:51], s[8:9], v[59:60]
	v_add_f64 v[75:76], v[75:76], v[81:82]
	v_add_f64 v[81:82], v[40:41], -v[28:29]
	v_fma_f64 v[83:84], v[22:23], s[14:15], v[63:64]
	v_fma_f64 v[63:64], v[22:23], s[6:7], v[63:64]
	;; [unrolled: 1-line block ×3, first 2 shown]
	v_add_f64 v[87:88], v[28:29], -v[40:41]
	v_fma_f64 v[89:90], v[30:31], s[6:7], v[38:39]
	v_fma_f64 v[38:39], v[30:31], s[14:15], v[38:39]
	;; [unrolled: 1-line block ×5, first 2 shown]
	v_add_f64 v[36:37], v[6:7], v[2:3]
	v_add_f64 v[28:29], v[4:5], v[28:29]
	;; [unrolled: 1-line block ×3, first 2 shown]
	v_fma_f64 v[26:27], v[46:47], s[12:13], v[26:27]
	v_mul_f64 v[46:47], v[50:51], s[22:23]
	v_add_f64 v[77:78], v[77:78], v[81:82]
	v_fma_f64 v[81:82], v[30:31], s[16:17], v[83:84]
	v_fma_f64 v[30:31], v[30:31], s[12:13], v[63:64]
	v_mul_f64 v[32:33], v[50:51], s[12:13]
	v_mul_f64 v[59:60], v[71:72], s[8:9]
	v_mul_f64 v[20:21], v[69:70], s[12:13]
	v_add_f64 v[24:25], v[85:86], v[87:88]
	v_fma_f64 v[69:70], v[22:23], s[16:17], v[89:90]
	v_fma_f64 v[22:23], v[22:23], s[12:13], v[38:39]
	v_mul_f64 v[38:39], v[71:72], s[6:7]
	v_mul_f64 v[73:74], v[79:80], s[20:21]
	;; [unrolled: 1-line block ×3, first 2 shown]
	v_add_f64 v[36:37], v[36:37], v[10:11]
	v_add_f64 v[40:41], v[28:29], v[40:41]
	;; [unrolled: 1-line block ×3, first 2 shown]
	v_fma_f64 v[26:27], v[34:35], s[8:9], v[26:27]
	v_fma_f64 v[34:35], v[34:35], s[8:9], v[18:19]
	;; [unrolled: 1-line block ×13, first 2 shown]
	v_add_f64 v[18:19], v[75:76], -v[36:37]
	v_add_f64 v[38:39], v[75:76], v[36:37]
	v_add_f64 v[36:37], v[40:41], v[8:9]
	v_add_f64 v[14:15], v[34:35], -v[46:47]
	v_add_f64 v[34:35], v[34:35], v[46:47]
	v_add_f64 v[32:33], v[63:64], v[12:13]
	v_add_f64 v[30:31], v[48:49], v[59:60]
	v_add_f64 v[28:29], v[50:51], v[42:43]
	v_add_f64 v[2:3], v[26:27], -v[65:66]
	v_add_f64 v[22:23], v[26:27], v[65:66]
	v_add_f64 v[26:27], v[57:58], v[73:74]
	;; [unrolled: 1-line block ×3, first 2 shown]
	v_add_f64 v[0:1], v[16:17], -v[20:21]
	v_add_f64 v[20:21], v[16:17], v[20:21]
	v_add_f64 v[16:17], v[40:41], -v[8:9]
	v_add_f64 v[12:13], v[63:64], -v[12:13]
	;; [unrolled: 1-line block ×6, first 2 shown]
	ds_write_b128 v113, v[36:39]
	ds_write_b128 v113, v[32:35] offset:1120
	ds_write_b128 v113, v[28:31] offset:2240
	;; [unrolled: 1-line block ×9, first 2 shown]
.LBB0_27:
	s_or_b64 exec, exec, s[4:5]
	s_waitcnt lgkmcnt(0)
	s_barrier
	s_and_saveexec_b64 s[4:5], s[0:1]
	s_cbranch_execz .LBB0_29
; %bb.28:
	v_mul_lo_u32 v0, s3, v54
	v_mul_lo_u32 v1, s2, v55
	v_mad_u64_u32 v[4:5], s[0:1], s2, v54, 0
	v_mov_b32_e32 v6, s11
	v_lshl_add_u32 v10, v56, 4, 0
	v_add3_u32 v5, v5, v1, v0
	v_lshlrev_b64 v[4:5], 4, v[4:5]
	v_mov_b32_e32 v57, 0
	v_add_co_u32_e32 v7, vcc, s10, v4
	v_addc_co_u32_e32 v6, vcc, v6, v5, vcc
	v_lshlrev_b64 v[4:5], 4, v[52:53]
	ds_read_b128 v[0:3], v10
	v_add_co_u32_e32 v11, vcc, v7, v4
	v_addc_co_u32_e32 v12, vcc, v6, v5, vcc
	v_lshlrev_b64 v[4:5], 4, v[56:57]
	v_add_co_u32_e32 v8, vcc, v11, v4
	v_addc_co_u32_e32 v9, vcc, v12, v5, vcc
	ds_read_b128 v[4:7], v10 offset:1600
	s_waitcnt lgkmcnt(1)
	global_store_dwordx4 v[8:9], v[0:3], off
	s_nop 0
	v_add_u32_e32 v0, 0x64, v56
	v_mov_b32_e32 v1, v57
	v_lshlrev_b64 v[0:1], 4, v[0:1]
	v_add_co_u32_e32 v0, vcc, v11, v0
	v_addc_co_u32_e32 v1, vcc, v12, v1, vcc
	s_waitcnt lgkmcnt(0)
	global_store_dwordx4 v[0:1], v[4:7], off
	ds_read_b128 v[0:3], v10 offset:3200
	v_add_u32_e32 v4, 0xc8, v56
	v_mov_b32_e32 v5, v57
	v_lshlrev_b64 v[4:5], 4, v[4:5]
	v_add_co_u32_e32 v8, vcc, v11, v4
	v_addc_co_u32_e32 v9, vcc, v12, v5, vcc
	ds_read_b128 v[4:7], v10 offset:4800
	s_waitcnt lgkmcnt(1)
	global_store_dwordx4 v[8:9], v[0:3], off
	s_nop 0
	v_add_u32_e32 v0, 0x12c, v56
	v_mov_b32_e32 v1, v57
	v_lshlrev_b64 v[0:1], 4, v[0:1]
	v_add_co_u32_e32 v0, vcc, v11, v0
	v_addc_co_u32_e32 v1, vcc, v12, v1, vcc
	s_waitcnt lgkmcnt(0)
	global_store_dwordx4 v[0:1], v[4:7], off
	ds_read_b128 v[0:3], v10 offset:6400
	v_add_u32_e32 v4, 0x190, v56
	v_mov_b32_e32 v5, v57
	v_lshlrev_b64 v[4:5], 4, v[4:5]
	v_add_co_u32_e32 v8, vcc, v11, v4
	v_addc_co_u32_e32 v9, vcc, v12, v5, vcc
	ds_read_b128 v[4:7], v10 offset:8000
	s_waitcnt lgkmcnt(1)
	global_store_dwordx4 v[8:9], v[0:3], off
	s_nop 0
	v_add_u32_e32 v0, 0x1f4, v56
	v_mov_b32_e32 v1, v57
	v_lshlrev_b64 v[0:1], 4, v[0:1]
	v_add_u32_e32 v56, 0x258, v56
	v_add_co_u32_e32 v0, vcc, v11, v0
	v_addc_co_u32_e32 v1, vcc, v12, v1, vcc
	s_waitcnt lgkmcnt(0)
	global_store_dwordx4 v[0:1], v[4:7], off
	ds_read_b128 v[0:3], v10 offset:9600
	v_lshlrev_b64 v[4:5], 4, v[56:57]
	v_add_co_u32_e32 v4, vcc, v11, v4
	v_addc_co_u32_e32 v5, vcc, v12, v5, vcc
	s_waitcnt lgkmcnt(0)
	global_store_dwordx4 v[4:5], v[0:3], off
.LBB0_29:
	s_endpgm
	.section	.rodata,"a",@progbits
	.p2align	6, 0x0
	.amdhsa_kernel fft_rtc_back_len700_factors_10_7_10_wgs_100_tpt_100_dp_op_CI_CI_unitstride_sbrr_C2R_dirReg
		.amdhsa_group_segment_fixed_size 0
		.amdhsa_private_segment_fixed_size 0
		.amdhsa_kernarg_size 104
		.amdhsa_user_sgpr_count 6
		.amdhsa_user_sgpr_private_segment_buffer 1
		.amdhsa_user_sgpr_dispatch_ptr 0
		.amdhsa_user_sgpr_queue_ptr 0
		.amdhsa_user_sgpr_kernarg_segment_ptr 1
		.amdhsa_user_sgpr_dispatch_id 0
		.amdhsa_user_sgpr_flat_scratch_init 0
		.amdhsa_user_sgpr_private_segment_size 0
		.amdhsa_uses_dynamic_stack 0
		.amdhsa_system_sgpr_private_segment_wavefront_offset 0
		.amdhsa_system_sgpr_workgroup_id_x 1
		.amdhsa_system_sgpr_workgroup_id_y 0
		.amdhsa_system_sgpr_workgroup_id_z 0
		.amdhsa_system_sgpr_workgroup_info 0
		.amdhsa_system_vgpr_workitem_id 0
		.amdhsa_next_free_vgpr 116
		.amdhsa_next_free_sgpr 28
		.amdhsa_reserve_vcc 1
		.amdhsa_reserve_flat_scratch 0
		.amdhsa_float_round_mode_32 0
		.amdhsa_float_round_mode_16_64 0
		.amdhsa_float_denorm_mode_32 3
		.amdhsa_float_denorm_mode_16_64 3
		.amdhsa_dx10_clamp 1
		.amdhsa_ieee_mode 1
		.amdhsa_fp16_overflow 0
		.amdhsa_exception_fp_ieee_invalid_op 0
		.amdhsa_exception_fp_denorm_src 0
		.amdhsa_exception_fp_ieee_div_zero 0
		.amdhsa_exception_fp_ieee_overflow 0
		.amdhsa_exception_fp_ieee_underflow 0
		.amdhsa_exception_fp_ieee_inexact 0
		.amdhsa_exception_int_div_zero 0
	.end_amdhsa_kernel
	.text
.Lfunc_end0:
	.size	fft_rtc_back_len700_factors_10_7_10_wgs_100_tpt_100_dp_op_CI_CI_unitstride_sbrr_C2R_dirReg, .Lfunc_end0-fft_rtc_back_len700_factors_10_7_10_wgs_100_tpt_100_dp_op_CI_CI_unitstride_sbrr_C2R_dirReg
                                        ; -- End function
	.section	.AMDGPU.csdata,"",@progbits
; Kernel info:
; codeLenInByte = 7536
; NumSgprs: 32
; NumVgprs: 116
; ScratchSize: 0
; MemoryBound: 0
; FloatMode: 240
; IeeeMode: 1
; LDSByteSize: 0 bytes/workgroup (compile time only)
; SGPRBlocks: 3
; VGPRBlocks: 28
; NumSGPRsForWavesPerEU: 32
; NumVGPRsForWavesPerEU: 116
; Occupancy: 2
; WaveLimiterHint : 1
; COMPUTE_PGM_RSRC2:SCRATCH_EN: 0
; COMPUTE_PGM_RSRC2:USER_SGPR: 6
; COMPUTE_PGM_RSRC2:TRAP_HANDLER: 0
; COMPUTE_PGM_RSRC2:TGID_X_EN: 1
; COMPUTE_PGM_RSRC2:TGID_Y_EN: 0
; COMPUTE_PGM_RSRC2:TGID_Z_EN: 0
; COMPUTE_PGM_RSRC2:TIDIG_COMP_CNT: 0
	.type	__hip_cuid_9414981657d0568e,@object ; @__hip_cuid_9414981657d0568e
	.section	.bss,"aw",@nobits
	.globl	__hip_cuid_9414981657d0568e
__hip_cuid_9414981657d0568e:
	.byte	0                               ; 0x0
	.size	__hip_cuid_9414981657d0568e, 1

	.ident	"AMD clang version 19.0.0git (https://github.com/RadeonOpenCompute/llvm-project roc-6.4.0 25133 c7fe45cf4b819c5991fe208aaa96edf142730f1d)"
	.section	".note.GNU-stack","",@progbits
	.addrsig
	.addrsig_sym __hip_cuid_9414981657d0568e
	.amdgpu_metadata
---
amdhsa.kernels:
  - .args:
      - .actual_access:  read_only
        .address_space:  global
        .offset:         0
        .size:           8
        .value_kind:     global_buffer
      - .offset:         8
        .size:           8
        .value_kind:     by_value
      - .actual_access:  read_only
        .address_space:  global
        .offset:         16
        .size:           8
        .value_kind:     global_buffer
      - .actual_access:  read_only
        .address_space:  global
        .offset:         24
        .size:           8
        .value_kind:     global_buffer
      - .actual_access:  read_only
        .address_space:  global
        .offset:         32
        .size:           8
        .value_kind:     global_buffer
      - .offset:         40
        .size:           8
        .value_kind:     by_value
      - .actual_access:  read_only
        .address_space:  global
        .offset:         48
        .size:           8
        .value_kind:     global_buffer
      - .actual_access:  read_only
        .address_space:  global
        .offset:         56
        .size:           8
        .value_kind:     global_buffer
      - .offset:         64
        .size:           4
        .value_kind:     by_value
      - .actual_access:  read_only
        .address_space:  global
        .offset:         72
        .size:           8
        .value_kind:     global_buffer
      - .actual_access:  read_only
        .address_space:  global
        .offset:         80
        .size:           8
        .value_kind:     global_buffer
      - .actual_access:  read_only
        .address_space:  global
        .offset:         88
        .size:           8
        .value_kind:     global_buffer
      - .actual_access:  write_only
        .address_space:  global
        .offset:         96
        .size:           8
        .value_kind:     global_buffer
    .group_segment_fixed_size: 0
    .kernarg_segment_align: 8
    .kernarg_segment_size: 104
    .language:       OpenCL C
    .language_version:
      - 2
      - 0
    .max_flat_workgroup_size: 100
    .name:           fft_rtc_back_len700_factors_10_7_10_wgs_100_tpt_100_dp_op_CI_CI_unitstride_sbrr_C2R_dirReg
    .private_segment_fixed_size: 0
    .sgpr_count:     32
    .sgpr_spill_count: 0
    .symbol:         fft_rtc_back_len700_factors_10_7_10_wgs_100_tpt_100_dp_op_CI_CI_unitstride_sbrr_C2R_dirReg.kd
    .uniform_work_group_size: 1
    .uses_dynamic_stack: false
    .vgpr_count:     116
    .vgpr_spill_count: 0
    .wavefront_size: 64
amdhsa.target:   amdgcn-amd-amdhsa--gfx906
amdhsa.version:
  - 1
  - 2
...

	.end_amdgpu_metadata
